;; amdgpu-corpus repo=ROCm/rocFFT kind=compiled arch=gfx1030 opt=O3
	.text
	.amdgcn_target "amdgcn-amd-amdhsa--gfx1030"
	.amdhsa_code_object_version 6
	.protected	fft_rtc_back_len2592_factors_6_6_6_6_2_wgs_216_tpt_216_halfLds_sp_ip_CI_unitstride_sbrr_R2C_dirReg ; -- Begin function fft_rtc_back_len2592_factors_6_6_6_6_2_wgs_216_tpt_216_halfLds_sp_ip_CI_unitstride_sbrr_R2C_dirReg
	.globl	fft_rtc_back_len2592_factors_6_6_6_6_2_wgs_216_tpt_216_halfLds_sp_ip_CI_unitstride_sbrr_R2C_dirReg
	.p2align	8
	.type	fft_rtc_back_len2592_factors_6_6_6_6_2_wgs_216_tpt_216_halfLds_sp_ip_CI_unitstride_sbrr_R2C_dirReg,@function
fft_rtc_back_len2592_factors_6_6_6_6_2_wgs_216_tpt_216_halfLds_sp_ip_CI_unitstride_sbrr_R2C_dirReg: ; @fft_rtc_back_len2592_factors_6_6_6_6_2_wgs_216_tpt_216_halfLds_sp_ip_CI_unitstride_sbrr_R2C_dirReg
; %bb.0:
	s_clause 0x2
	s_load_dwordx4 s[8:11], s[4:5], 0x0
	s_load_dwordx2 s[2:3], s[4:5], 0x50
	s_load_dwordx2 s[12:13], s[4:5], 0x18
	v_mul_u32_u24_e32 v1, 0x130, v0
	v_mov_b32_e32 v3, 0
	v_add_nc_u32_sdwa v5, s6, v1 dst_sel:DWORD dst_unused:UNUSED_PAD src0_sel:DWORD src1_sel:WORD_1
	v_mov_b32_e32 v1, 0
	v_mov_b32_e32 v6, v3
	v_mov_b32_e32 v2, 0
	s_waitcnt lgkmcnt(0)
	v_cmp_lt_u64_e64 s0, s[10:11], 2
	s_and_b32 vcc_lo, exec_lo, s0
	s_cbranch_vccnz .LBB0_8
; %bb.1:
	s_load_dwordx2 s[0:1], s[4:5], 0x10
	v_mov_b32_e32 v1, 0
	s_add_u32 s6, s12, 8
	v_mov_b32_e32 v2, 0
	s_addc_u32 s7, s13, 0
	s_mov_b64 s[16:17], 1
	s_waitcnt lgkmcnt(0)
	s_add_u32 s14, s0, 8
	s_addc_u32 s15, s1, 0
.LBB0_2:                                ; =>This Inner Loop Header: Depth=1
	s_load_dwordx2 s[18:19], s[14:15], 0x0
                                        ; implicit-def: $vgpr7_vgpr8
	s_mov_b32 s0, exec_lo
	s_waitcnt lgkmcnt(0)
	v_or_b32_e32 v4, s19, v6
	v_cmpx_ne_u64_e32 0, v[3:4]
	s_xor_b32 s1, exec_lo, s0
	s_cbranch_execz .LBB0_4
; %bb.3:                                ;   in Loop: Header=BB0_2 Depth=1
	v_cvt_f32_u32_e32 v4, s18
	v_cvt_f32_u32_e32 v7, s19
	s_sub_u32 s0, 0, s18
	s_subb_u32 s20, 0, s19
	v_fmac_f32_e32 v4, 0x4f800000, v7
	v_rcp_f32_e32 v4, v4
	v_mul_f32_e32 v4, 0x5f7ffffc, v4
	v_mul_f32_e32 v7, 0x2f800000, v4
	v_trunc_f32_e32 v7, v7
	v_fmac_f32_e32 v4, 0xcf800000, v7
	v_cvt_u32_f32_e32 v7, v7
	v_cvt_u32_f32_e32 v4, v4
	v_mul_lo_u32 v8, s0, v7
	v_mul_hi_u32 v9, s0, v4
	v_mul_lo_u32 v10, s20, v4
	v_add_nc_u32_e32 v8, v9, v8
	v_mul_lo_u32 v9, s0, v4
	v_add_nc_u32_e32 v8, v8, v10
	v_mul_hi_u32 v10, v4, v9
	v_mul_lo_u32 v11, v4, v8
	v_mul_hi_u32 v12, v4, v8
	v_mul_hi_u32 v13, v7, v9
	v_mul_lo_u32 v9, v7, v9
	v_mul_hi_u32 v14, v7, v8
	v_mul_lo_u32 v8, v7, v8
	v_add_co_u32 v10, vcc_lo, v10, v11
	v_add_co_ci_u32_e32 v11, vcc_lo, 0, v12, vcc_lo
	v_add_co_u32 v9, vcc_lo, v10, v9
	v_add_co_ci_u32_e32 v9, vcc_lo, v11, v13, vcc_lo
	v_add_co_ci_u32_e32 v10, vcc_lo, 0, v14, vcc_lo
	v_add_co_u32 v8, vcc_lo, v9, v8
	v_add_co_ci_u32_e32 v9, vcc_lo, 0, v10, vcc_lo
	v_add_co_u32 v4, vcc_lo, v4, v8
	v_add_co_ci_u32_e32 v7, vcc_lo, v7, v9, vcc_lo
	v_mul_hi_u32 v8, s0, v4
	v_mul_lo_u32 v10, s20, v4
	v_mul_lo_u32 v9, s0, v7
	v_add_nc_u32_e32 v8, v8, v9
	v_mul_lo_u32 v9, s0, v4
	v_add_nc_u32_e32 v8, v8, v10
	v_mul_hi_u32 v10, v4, v9
	v_mul_lo_u32 v11, v4, v8
	v_mul_hi_u32 v12, v4, v8
	v_mul_hi_u32 v13, v7, v9
	v_mul_lo_u32 v9, v7, v9
	v_mul_hi_u32 v14, v7, v8
	v_mul_lo_u32 v8, v7, v8
	v_add_co_u32 v10, vcc_lo, v10, v11
	v_add_co_ci_u32_e32 v11, vcc_lo, 0, v12, vcc_lo
	v_add_co_u32 v9, vcc_lo, v10, v9
	v_add_co_ci_u32_e32 v9, vcc_lo, v11, v13, vcc_lo
	v_add_co_ci_u32_e32 v10, vcc_lo, 0, v14, vcc_lo
	v_add_co_u32 v8, vcc_lo, v9, v8
	v_add_co_ci_u32_e32 v9, vcc_lo, 0, v10, vcc_lo
	v_add_co_u32 v4, vcc_lo, v4, v8
	v_add_co_ci_u32_e32 v11, vcc_lo, v7, v9, vcc_lo
	v_mul_hi_u32 v13, v5, v4
	v_mad_u64_u32 v[9:10], null, v6, v4, 0
	v_mad_u64_u32 v[7:8], null, v5, v11, 0
	;; [unrolled: 1-line block ×3, first 2 shown]
	v_add_co_u32 v4, vcc_lo, v13, v7
	v_add_co_ci_u32_e32 v7, vcc_lo, 0, v8, vcc_lo
	v_add_co_u32 v4, vcc_lo, v4, v9
	v_add_co_ci_u32_e32 v4, vcc_lo, v7, v10, vcc_lo
	v_add_co_ci_u32_e32 v7, vcc_lo, 0, v12, vcc_lo
	v_add_co_u32 v4, vcc_lo, v4, v11
	v_add_co_ci_u32_e32 v9, vcc_lo, 0, v7, vcc_lo
	v_mul_lo_u32 v10, s19, v4
	v_mad_u64_u32 v[7:8], null, s18, v4, 0
	v_mul_lo_u32 v11, s18, v9
	v_sub_co_u32 v7, vcc_lo, v5, v7
	v_add3_u32 v8, v8, v11, v10
	v_sub_nc_u32_e32 v10, v6, v8
	v_subrev_co_ci_u32_e64 v10, s0, s19, v10, vcc_lo
	v_add_co_u32 v11, s0, v4, 2
	v_add_co_ci_u32_e64 v12, s0, 0, v9, s0
	v_sub_co_u32 v13, s0, v7, s18
	v_sub_co_ci_u32_e32 v8, vcc_lo, v6, v8, vcc_lo
	v_subrev_co_ci_u32_e64 v10, s0, 0, v10, s0
	v_cmp_le_u32_e32 vcc_lo, s18, v13
	v_cmp_eq_u32_e64 s0, s19, v8
	v_cndmask_b32_e64 v13, 0, -1, vcc_lo
	v_cmp_le_u32_e32 vcc_lo, s19, v10
	v_cndmask_b32_e64 v14, 0, -1, vcc_lo
	v_cmp_le_u32_e32 vcc_lo, s18, v7
	;; [unrolled: 2-line block ×3, first 2 shown]
	v_cndmask_b32_e64 v15, 0, -1, vcc_lo
	v_cmp_eq_u32_e32 vcc_lo, s19, v10
	v_cndmask_b32_e64 v7, v15, v7, s0
	v_cndmask_b32_e32 v10, v14, v13, vcc_lo
	v_add_co_u32 v13, vcc_lo, v4, 1
	v_add_co_ci_u32_e32 v14, vcc_lo, 0, v9, vcc_lo
	v_cmp_ne_u32_e32 vcc_lo, 0, v10
	v_cndmask_b32_e32 v8, v14, v12, vcc_lo
	v_cndmask_b32_e32 v10, v13, v11, vcc_lo
	v_cmp_ne_u32_e32 vcc_lo, 0, v7
	v_cndmask_b32_e32 v8, v9, v8, vcc_lo
	v_cndmask_b32_e32 v7, v4, v10, vcc_lo
.LBB0_4:                                ;   in Loop: Header=BB0_2 Depth=1
	s_andn2_saveexec_b32 s0, s1
	s_cbranch_execz .LBB0_6
; %bb.5:                                ;   in Loop: Header=BB0_2 Depth=1
	v_cvt_f32_u32_e32 v4, s18
	s_sub_i32 s1, 0, s18
	v_rcp_iflag_f32_e32 v4, v4
	v_mul_f32_e32 v4, 0x4f7ffffe, v4
	v_cvt_u32_f32_e32 v4, v4
	v_mul_lo_u32 v7, s1, v4
	v_mul_hi_u32 v7, v4, v7
	v_add_nc_u32_e32 v4, v4, v7
	v_mul_hi_u32 v4, v5, v4
	v_mul_lo_u32 v7, v4, s18
	v_add_nc_u32_e32 v8, 1, v4
	v_sub_nc_u32_e32 v7, v5, v7
	v_subrev_nc_u32_e32 v9, s18, v7
	v_cmp_le_u32_e32 vcc_lo, s18, v7
	v_cndmask_b32_e32 v7, v7, v9, vcc_lo
	v_cndmask_b32_e32 v4, v4, v8, vcc_lo
	v_cmp_le_u32_e32 vcc_lo, s18, v7
	v_add_nc_u32_e32 v8, 1, v4
	v_cndmask_b32_e32 v7, v4, v8, vcc_lo
	v_mov_b32_e32 v8, v3
.LBB0_6:                                ;   in Loop: Header=BB0_2 Depth=1
	s_or_b32 exec_lo, exec_lo, s0
	s_load_dwordx2 s[0:1], s[6:7], 0x0
	v_mul_lo_u32 v4, v8, s18
	v_mul_lo_u32 v11, v7, s19
	v_mad_u64_u32 v[9:10], null, v7, s18, 0
	s_add_u32 s16, s16, 1
	s_addc_u32 s17, s17, 0
	s_add_u32 s6, s6, 8
	s_addc_u32 s7, s7, 0
	;; [unrolled: 2-line block ×3, first 2 shown]
	v_add3_u32 v4, v10, v11, v4
	v_sub_co_u32 v5, vcc_lo, v5, v9
	v_sub_co_ci_u32_e32 v4, vcc_lo, v6, v4, vcc_lo
	s_waitcnt lgkmcnt(0)
	v_mul_lo_u32 v6, s1, v5
	v_mul_lo_u32 v4, s0, v4
	v_mad_u64_u32 v[1:2], null, s0, v5, v[1:2]
	v_cmp_ge_u64_e64 s0, s[16:17], s[10:11]
	s_and_b32 vcc_lo, exec_lo, s0
	v_add3_u32 v2, v6, v2, v4
	s_cbranch_vccnz .LBB0_9
; %bb.7:                                ;   in Loop: Header=BB0_2 Depth=1
	v_mov_b32_e32 v5, v7
	v_mov_b32_e32 v6, v8
	s_branch .LBB0_2
.LBB0_8:
	v_mov_b32_e32 v8, v6
	v_mov_b32_e32 v7, v5
.LBB0_9:
	s_lshl_b64 s[0:1], s[10:11], 3
	v_mul_hi_u32 v3, 0x12f684c, v0
	s_add_u32 s0, s12, s0
	s_addc_u32 s1, s13, s1
	s_load_dwordx2 s[4:5], s[4:5], 0x20
	s_load_dwordx2 s[0:1], s[0:1], 0x0
	v_mul_u32_u24_e32 v3, 0xd8, v3
	v_sub_nc_u32_e32 v0, v0, v3
	v_add_nc_u32_e32 v4, 0xd8, v0
	v_add_nc_u32_e32 v12, 0x1b0, v0
	;; [unrolled: 1-line block ×4, first 2 shown]
	s_waitcnt lgkmcnt(0)
	v_cmp_gt_u64_e32 vcc_lo, s[4:5], v[7:8]
	v_mul_lo_u32 v5, s0, v8
	v_mul_lo_u32 v9, s1, v7
	v_mad_u64_u32 v[2:3], null, s0, v7, v[1:2]
	v_cmp_le_u64_e64 s0, s[4:5], v[7:8]
	v_add_nc_u32_e32 v8, 0x438, v0
	v_add3_u32 v3, v9, v3, v5
	s_and_saveexec_b32 s1, s0
	s_xor_b32 s0, exec_lo, s1
; %bb.10:
	v_mov_b32_e32 v1, 0
	v_add_nc_u32_e32 v4, 0xd8, v0
	v_add_nc_u32_e32 v12, 0x1b0, v0
	;; [unrolled: 1-line block ×5, first 2 shown]
	v_mov_b32_e32 v5, v1
	v_mov_b32_e32 v13, v1
	;; [unrolled: 1-line block ×5, first 2 shown]
; %bb.11:
	s_or_saveexec_b32 s1, s0
	v_lshlrev_b64 v[2:3], 3, v[2:3]
	s_xor_b32 exec_lo, exec_lo, s1
	s_cbranch_execz .LBB0_13
; %bb.12:
	v_mov_b32_e32 v1, 0
	v_add_co_u32 v5, s0, s2, v2
	v_add_co_ci_u32_e64 v7, s0, s3, v3, s0
	v_lshlrev_b64 v[13:14], 3, v[0:1]
	v_mov_b32_e32 v11, v1
	v_mov_b32_e32 v9, v1
	v_add_co_u32 v13, s0, v5, v13
	v_add_co_ci_u32_e64 v14, s0, v7, v14, s0
	v_mov_b32_e32 v5, v1
	v_add_co_u32 v15, s0, 0x800, v13
	v_add_co_ci_u32_e64 v16, s0, 0, v14, s0
	v_add_co_u32 v17, s0, 0x1000, v13
	v_add_co_ci_u32_e64 v18, s0, 0, v14, s0
	;; [unrolled: 2-line block ×8, first 2 shown]
	s_clause 0x3
	global_load_dwordx2 v[19:20], v[13:14], off
	global_load_dwordx2 v[21:22], v[13:14], off offset:1728
	global_load_dwordx2 v[15:16], v[15:16], off offset:1408
	;; [unrolled: 1-line block ×3, first 2 shown]
	v_add_co_u32 v13, s0, 0x4800, v13
	v_add_co_ci_u32_e64 v14, s0, 0, v14, s0
	s_clause 0x7
	global_load_dwordx2 v[23:24], v[23:24], off offset:768
	global_load_dwordx2 v[25:26], v[25:26], off offset:448
	;; [unrolled: 1-line block ×8, first 2 shown]
	v_lshl_add_u32 v14, v0, 3, 0
	v_mov_b32_e32 v13, v1
	v_mov_b32_e32 v7, v1
	v_add_nc_u32_e32 v39, 0xd00, v14
	v_add_nc_u32_e32 v40, 0x1a00, v14
	;; [unrolled: 1-line block ×5, first 2 shown]
	s_waitcnt vmcnt(10)
	ds_write2_b64 v14, v[19:20], v[21:22] offset1:216
	s_waitcnt vmcnt(8)
	ds_write2_b64 v39, v[15:16], v[17:18] offset0:16 offset1:232
	s_waitcnt vmcnt(6)
	ds_write2_b64 v40, v[23:24], v[25:26] offset0:32 offset1:248
	;; [unrolled: 2-line block ×3, first 2 shown]
	s_waitcnt vmcnt(2)
	ds_write2_b64 v42, v[29:30], v[31:32] offset1:216
	s_waitcnt vmcnt(0)
	ds_write2_b64 v43, v[33:34], v[37:38] offset0:16 offset1:232
.LBB0_13:
	s_or_b32 exec_lo, exec_lo, s1
	v_lshlrev_b32_e32 v23, 3, v0
	s_waitcnt lgkmcnt(0)
	s_barrier
	buffer_gl0_inv
	s_add_u32 s1, s8, 0x50d0
	v_add_nc_u32_e32 v22, 0, v23
	v_sub_nc_u32_e32 v23, 0, v23
	s_addc_u32 s4, s9, 0
	s_mov_b32 s5, exec_lo
	v_add_nc_u32_e32 v30, 0x1a00, v22
	v_add_nc_u32_e32 v16, 0xd00, v22
	;; [unrolled: 1-line block ×5, first 2 shown]
	ds_read2_b64 v[17:20], v22 offset1:216
	ds_read2_b64 v[31:34], v30 offset0:32 offset1:248
	ds_read2_b64 v[35:38], v27 offset1:216
	ds_read2_b64 v[39:42], v16 offset0:16 offset1:232
	ds_read2_b64 v[43:46], v29 offset0:16 offset1:232
	;; [unrolled: 1-line block ×3, first 2 shown]
	s_waitcnt lgkmcnt(0)
	s_barrier
	buffer_gl0_inv
	v_add_f32_e32 v14, v17, v31
	v_add_f32_e32 v15, v31, v35
	v_sub_f32_e32 v26, v31, v35
	v_add_f32_e32 v31, v39, v43
	v_sub_f32_e32 v51, v44, v48
	v_add_f32_e32 v52, v40, v44
	v_add_f32_e32 v44, v44, v48
	v_sub_f32_e32 v21, v32, v36
	v_add_f32_e32 v24, v18, v32
	v_add_f32_e32 v25, v32, v36
	v_add_f32_e32 v32, v43, v47
	v_sub_f32_e32 v43, v43, v47
	v_fma_f32 v54, -0.5, v15, v17
	v_add_f32_e32 v17, v31, v47
	v_fma_f32 v31, -0.5, v44, v40
	v_fma_f32 v55, -0.5, v25, v18
	;; [unrolled: 1-line block ×3, first 2 shown]
	v_add_f32_e32 v24, v24, v36
	v_fmamk_f32 v36, v21, 0xbf5db3d7, v54
	v_fmamk_f32 v32, v43, 0x3f5db3d7, v31
	v_fmac_f32_e32 v54, 0x3f5db3d7, v21
	v_fmamk_f32 v21, v26, 0x3f5db3d7, v55
	v_fmac_f32_e32 v55, 0xbf5db3d7, v26
	v_fmamk_f32 v26, v51, 0xbf5db3d7, v18
	v_fmac_f32_e32 v31, 0xbf5db3d7, v43
	v_mul_f32_e32 v39, 0xbf5db3d7, v32
	v_mul_f32_e32 v43, 0.5, v32
	v_add_f32_e32 v53, v33, v37
	v_add_f32_e32 v35, v14, v35
	;; [unrolled: 1-line block ×3, first 2 shown]
	v_fmac_f32_e32 v18, 0x3f5db3d7, v51
	v_mul_f32_e32 v40, 0xbf5db3d7, v31
	v_mul_f32_e32 v44, -0.5, v31
	v_fmac_f32_e32 v39, 0.5, v26
	v_fmac_f32_e32 v43, 0x3f5db3d7, v26
	v_add_f32_e32 v14, v35, v17
	v_add_f32_e32 v15, v24, v25
	v_sub_f32_e32 v17, v35, v17
	v_fmac_f32_e32 v40, -0.5, v18
	v_fmac_f32_e32 v44, 0x3f5db3d7, v18
	v_sub_f32_e32 v18, v24, v25
	v_add_f32_e32 v24, v36, v39
	v_add_f32_e32 v25, v21, v43
	v_sub_f32_e32 v35, v36, v39
	v_sub_f32_e32 v36, v21, v43
	v_fma_f32 v21, -0.5, v53, v19
	v_sub_f32_e32 v26, v34, v38
	v_add_f32_e32 v31, v54, v40
	v_add_f32_e32 v32, v55, v44
	v_sub_f32_e32 v39, v54, v40
	v_sub_f32_e32 v40, v55, v44
	v_add_f32_e32 v43, v34, v38
	v_add_f32_e32 v19, v19, v33
	v_fmamk_f32 v44, v26, 0xbf5db3d7, v21
	v_fmac_f32_e32 v21, 0x3f5db3d7, v26
	v_add_f32_e32 v26, v20, v34
	v_add_f32_e32 v34, v46, v50
	v_fmac_f32_e32 v20, -0.5, v43
	v_add_f32_e32 v19, v19, v37
	v_sub_f32_e32 v33, v33, v37
	v_add_f32_e32 v37, v45, v49
	v_add_f32_e32 v43, v42, v46
	v_fmac_f32_e32 v42, -0.5, v34
	v_sub_f32_e32 v34, v45, v49
	v_add_f32_e32 v26, v26, v38
	v_fma_f32 v38, -0.5, v37, v41
	v_sub_f32_e32 v37, v46, v50
	v_add_f32_e32 v41, v41, v45
	v_fmamk_f32 v46, v34, 0x3f5db3d7, v42
	v_fmac_f32_e32 v42, 0xbf5db3d7, v34
	v_and_b32_e32 v52, 0xff, v0
	v_fmamk_f32 v34, v37, 0xbf5db3d7, v38
	v_add_f32_e32 v48, v41, v49
	v_fmac_f32_e32 v38, 0x3f5db3d7, v37
	v_mul_f32_e32 v49, 0xbf5db3d7, v42
	v_fmamk_f32 v47, v33, 0x3f5db3d7, v20
	v_fmac_f32_e32 v20, 0xbf5db3d7, v33
	v_mul_f32_e32 v45, 0xbf5db3d7, v46
	v_add_f32_e32 v50, v43, v50
	v_fmac_f32_e32 v49, -0.5, v38
	v_add_f32_e32 v33, v19, v48
	v_sub_f32_e32 v43, v19, v48
	v_mul_lo_u16 v48, 0xab, v52
	v_mul_f32_e32 v46, 0.5, v46
	v_add_f32_e32 v41, v21, v49
	v_sub_f32_e32 v19, v21, v49
	v_mov_b32_e32 v21, 0xaaab
	v_fmac_f32_e32 v45, 0.5, v34
	v_lshrrev_b16 v53, 10, v48
	v_mul_f32_e32 v51, -0.5, v42
	v_fmac_f32_e32 v46, 0x3f5db3d7, v34
	v_mul_u32_u24_sdwa v21, v4, v21 dst_sel:DWORD dst_unused:UNUSED_PAD src0_sel:WORD_0 src1_sel:DWORD
	v_add_f32_e32 v37, v44, v45
	v_add_f32_e32 v34, v26, v50
	v_sub_f32_e32 v45, v44, v45
	v_sub_f32_e32 v44, v26, v50
	v_mul_lo_u16 v26, v53, 6
	v_fmac_f32_e32 v51, 0x3f5db3d7, v38
	v_add_f32_e32 v38, v47, v46
	v_sub_f32_e32 v46, v47, v46
	v_mad_u32_u24 v47, v0, 40, v22
	v_lshrrev_b32_e32 v56, 18, v21
	v_sub_nc_u16 v54, v0, v26
	v_mov_b32_e32 v55, 5
	v_mul_i32_i24_e32 v48, 6, v4
	ds_write2_b64 v47, v[14:15], v[24:25] offset1:1
	v_mul_lo_u16 v15, v56, 6
	v_add_f32_e32 v42, v20, v51
	v_mul_u32_u24_sdwa v14, v54, v55 dst_sel:DWORD dst_unused:UNUSED_PAD src0_sel:BYTE_0 src1_sel:DWORD
	v_lshl_add_u32 v26, v48, 3, 0
	v_sub_f32_e32 v20, v20, v51
	v_sub_nc_u16 v57, v4, v15
	ds_write2_b64 v47, v[31:32], v[17:18] offset0:2 offset1:3
	ds_write2_b64 v47, v[35:36], v[39:40] offset0:4 offset1:5
	v_lshlrev_b32_e32 v21, 3, v14
	ds_write2_b64 v26, v[33:34], v[37:38] offset1:1
	ds_write2_b64 v26, v[41:42], v[43:44] offset0:2 offset1:3
	ds_write2_b64 v26, v[45:46], v[19:20] offset0:4 offset1:5
	v_mul_u32_u24_sdwa v14, v57, v55 dst_sel:DWORD dst_unused:UNUSED_PAD src0_sel:WORD_0 src1_sel:DWORD
	s_waitcnt lgkmcnt(0)
	s_barrier
	buffer_gl0_inv
	global_load_dwordx4 v[17:20], v21, s[8:9]
	v_lshlrev_b32_e32 v58, 3, v14
	s_clause 0x1
	global_load_dwordx2 v[44:45], v21, s[8:9] offset:32
	global_load_dwordx4 v[32:35], v58, s[8:9] offset:16
	v_lshl_add_u32 v25, v12, 3, 0
	v_lshl_add_u32 v24, v10, 3, 0
	ds_read_b64 v[40:41], v25
	ds_read_b64 v[46:47], v24
	v_add_nc_u32_e32 v14, 0x3c00, v22
	v_mad_i32_i24 v31, 0xffffffd8, v4, v26
	ds_read_b64 v[48:49], v22 offset:19008
	v_mul_lo_u16 v52, v52, 57
	v_mul_u32_u24_e32 v56, 0x120, v56
	ds_read2_b64 v[36:39], v14 offset0:24 offset1:240
	ds_read_b64 v[50:51], v31
	v_lshlrev_b64 v[12:13], 3, v[12:13]
	v_lshrrev_b16 v52, 11, v52
	v_lshlrev_b64 v[10:11], 3, v[10:11]
	s_waitcnt vmcnt(2) lgkmcnt(4)
	v_mul_f32_e32 v59, v18, v41
	v_mul_f32_e32 v15, v18, v40
	s_waitcnt lgkmcnt(3)
	v_mul_f32_e32 v60, v20, v47
	v_mul_f32_e32 v18, v20, v46
	v_fmac_f32_e32 v59, v17, v40
	v_fma_f32 v61, v17, v41, -v15
	v_fmac_f32_e32 v60, v19, v46
	v_fma_f32 v46, v19, v47, -v18
	s_waitcnt vmcnt(1) lgkmcnt(1)
	v_mul_f32_e32 v47, v45, v39
	v_mul_f32_e32 v17, v45, v38
	s_waitcnt vmcnt(0)
	v_mul_f32_e32 v45, v37, v35
	v_mul_f32_e32 v18, v36, v35
	v_add_nc_u32_e32 v15, 0x2f00, v22
	v_fmac_f32_e32 v47, v44, v38
	v_fma_f32 v38, v44, v39, -v17
	v_fmac_f32_e32 v45, v36, v34
	v_fma_f32 v36, v37, v34, -v18
	ds_read2_b64 v[17:20], v15 offset0:8 offset1:224
	global_load_dwordx4 v[40:43], v58, s[8:9]
	s_waitcnt lgkmcnt(0)
	v_mul_f32_e32 v37, v18, v33
	v_mul_f32_e32 v33, v17, v33
	v_fmac_f32_e32 v37, v17, v32
	v_fma_f32 v39, v18, v32, -v33
	global_load_dwordx4 v[32:35], v21, s[8:9] offset:16
	s_waitcnt vmcnt(0)
	v_mul_f32_e32 v44, v35, v20
	v_mul_f32_e32 v17, v35, v19
	v_fmac_f32_e32 v44, v34, v19
	v_fma_f32 v34, v34, v20, -v17
	v_add_nc_u32_e32 v17, 0x2100, v22
	ds_read2_b64 v[18:21], v17 offset0:24 offset1:240
	s_waitcnt lgkmcnt(0)
	v_mul_f32_e32 v35, v33, v21
	v_fmac_f32_e32 v35, v32, v20
	v_mul_f32_e32 v20, v33, v20
	v_mul_f32_e32 v33, v19, v43
	v_fma_f32 v32, v32, v21, -v20
	v_fmac_f32_e32 v33, v18, v42
	v_mul_f32_e32 v18, v18, v43
	ds_read_b64 v[20:21], v22
	v_sub_f32_e32 v62, v33, v45
	v_fma_f32 v42, v19, v42, -v18
	ds_read_b64 v[18:19], v22 offset:5184
	s_waitcnt lgkmcnt(0)
	v_mul_f32_e32 v43, v19, v41
	v_fmac_f32_e32 v43, v18, v40
	v_mul_f32_e32 v18, v18, v41
	v_fma_f32 v40, v19, v40, -v18
	global_load_dwordx2 v[18:19], v58, s[8:9] offset:32
	v_add_f32_e32 v58, v21, v46
	s_waitcnt vmcnt(0)
	s_barrier
	buffer_gl0_inv
	v_mul_f32_e32 v41, v49, v19
	v_mul_f32_e32 v19, v48, v19
	v_fmac_f32_e32 v41, v48, v18
	v_fma_f32 v18, v49, v18, -v19
	v_add_f32_e32 v19, v20, v60
	v_add_f32_e32 v48, v60, v44
	v_sub_f32_e32 v49, v46, v34
	v_add_f32_e32 v46, v46, v34
	v_sub_f32_e32 v60, v60, v44
	v_add_f32_e32 v44, v19, v44
	v_add_f32_e32 v19, v59, v35
	;; [unrolled: 1-line block ×4, first 2 shown]
	v_fmac_f32_e32 v21, -0.5, v46
	v_add_f32_e32 v46, v61, v32
	v_sub_f32_e32 v35, v35, v47
	v_add_f32_e32 v47, v19, v47
	v_sub_f32_e32 v19, v32, v38
	v_add_f32_e32 v32, v32, v38
	v_fmac_f32_e32 v59, -0.5, v58
	v_add_f32_e32 v58, v50, v33
	v_add_f32_e32 v38, v46, v38
	;; [unrolled: 1-line block ×3, first 2 shown]
	v_fmac_f32_e32 v61, -0.5, v32
	v_add_f32_e32 v32, v51, v42
	v_add_f32_e32 v33, v42, v36
	;; [unrolled: 1-line block ×3, first 2 shown]
	v_sub_f32_e32 v42, v42, v36
	v_sub_f32_e32 v63, v37, v41
	v_add_f32_e32 v58, v32, v36
	v_add_f32_e32 v32, v43, v37
	v_fmac_f32_e32 v51, -0.5, v33
	v_add_f32_e32 v33, v37, v41
	v_sub_f32_e32 v37, v39, v18
	v_fma_f32 v46, -0.5, v46, v50
	v_add_f32_e32 v36, v32, v41
	v_add_f32_e32 v32, v40, v39
	v_fmac_f32_e32 v43, -0.5, v33
	v_add_f32_e32 v33, v39, v18
	v_fmamk_f32 v50, v35, 0x3f5db3d7, v61
	v_fmac_f32_e32 v61, 0xbf5db3d7, v35
	v_add_f32_e32 v39, v32, v18
	v_fmamk_f32 v41, v19, 0xbf5db3d7, v59
	v_fmac_f32_e32 v40, -0.5, v33
	v_fmac_f32_e32 v59, 0x3f5db3d7, v19
	v_add_f32_e32 v18, v44, v47
	v_add_f32_e32 v19, v34, v38
	v_sub_f32_e32 v32, v44, v47
	v_sub_f32_e32 v33, v34, v38
	v_fmamk_f32 v38, v37, 0xbf5db3d7, v43
	v_fmac_f32_e32 v43, 0x3f5db3d7, v37
	v_add_f32_e32 v34, v45, v36
	v_add_f32_e32 v35, v58, v39
	v_sub_f32_e32 v36, v45, v36
	v_sub_f32_e32 v37, v58, v39
	v_fmamk_f32 v39, v63, 0x3f5db3d7, v40
	v_fmac_f32_e32 v40, 0xbf5db3d7, v63
	v_mul_f32_e32 v45, 0xbf5db3d7, v61
	v_mul_f32_e32 v47, -0.5, v61
	v_fma_f32 v20, -0.5, v48, v20
	v_mul_f32_e32 v44, 0.5, v50
	v_mul_f32_e32 v58, 0xbf5db3d7, v40
	v_fmac_f32_e32 v45, -0.5, v59
	v_fmac_f32_e32 v47, 0x3f5db3d7, v59
	v_mul_f32_e32 v59, 0.5, v39
	v_mul_f32_e32 v61, -0.5, v40
	v_fmamk_f32 v48, v49, 0xbf5db3d7, v20
	v_fmac_f32_e32 v20, 0x3f5db3d7, v49
	v_fmamk_f32 v49, v60, 0x3f5db3d7, v21
	v_fmac_f32_e32 v21, 0xbf5db3d7, v60
	v_fmamk_f32 v60, v42, 0xbf5db3d7, v46
	v_fmac_f32_e32 v46, 0x3f5db3d7, v42
	v_fmamk_f32 v64, v62, 0x3f5db3d7, v51
	v_fmac_f32_e32 v51, 0xbf5db3d7, v62
	v_mul_f32_e32 v42, 0xbf5db3d7, v50
	v_mul_f32_e32 v50, 0xbf5db3d7, v39
	v_mov_b32_e32 v62, 0xe38f
	v_fmac_f32_e32 v44, 0x3f5db3d7, v41
	v_fmac_f32_e32 v58, -0.5, v43
	v_fmac_f32_e32 v59, 0x3f5db3d7, v38
	v_fmac_f32_e32 v61, 0x3f5db3d7, v43
	v_fmac_f32_e32 v42, 0.5, v41
	v_fmac_f32_e32 v50, 0.5, v38
	v_mul_u32_u24_sdwa v62, v4, v62 dst_sel:DWORD dst_unused:UNUSED_PAD src0_sel:WORD_0 src1_sel:DWORD
	v_add_f32_e32 v39, v21, v47
	v_sub_f32_e32 v21, v21, v47
	v_add_f32_e32 v38, v20, v45
	v_sub_f32_e32 v20, v20, v45
	;; [unrolled: 2-line block ×4, first 2 shown]
	v_mov_b32_e32 v61, 0x120
	v_add_f32_e32 v44, v46, v58
	v_sub_f32_e32 v46, v46, v58
	v_add_f32_e32 v49, v64, v59
	v_sub_f32_e32 v51, v64, v59
	v_mov_b32_e32 v58, 3
	v_mul_lo_u16 v59, v52, 36
	v_add_f32_e32 v40, v48, v42
	v_sub_f32_e32 v42, v48, v42
	v_add_f32_e32 v48, v60, v50
	v_sub_f32_e32 v50, v60, v50
	v_lshrrev_b32_e32 v60, 21, v62
	v_mul_u32_u24_sdwa v53, v53, v61 dst_sel:DWORD dst_unused:UNUSED_PAD src0_sel:WORD_0 src1_sel:DWORD
	v_lshlrev_b32_sdwa v54, v58, v54 dst_sel:DWORD dst_unused:UNUSED_PAD src0_sel:DWORD src1_sel:BYTE_0
	v_sub_nc_u16 v59, v0, v59
	v_lshlrev_b32_sdwa v57, v58, v57 dst_sel:DWORD dst_unused:UNUSED_PAD src0_sel:DWORD src1_sel:WORD_0
	v_mul_lo_u16 v61, v60, 36
	v_add3_u32 v53, 0, v53, v54
	v_mul_u32_u24_sdwa v54, v59, v55 dst_sel:DWORD dst_unused:UNUSED_PAD src0_sel:BYTE_0 src1_sel:DWORD
	v_add3_u32 v56, 0, v56, v57
	v_sub_nc_u16 v61, v4, v61
	ds_write2_b64 v53, v[18:19], v[40:41] offset1:6
	ds_write2_b64 v53, v[38:39], v[32:33] offset0:12 offset1:18
	ds_write2_b64 v53, v[42:43], v[20:21] offset0:24 offset1:30
	ds_write2_b64 v56, v[34:35], v[48:49] offset1:6
	ds_write2_b64 v56, v[44:45], v[36:37] offset0:12 offset1:18
	ds_write2_b64 v56, v[50:51], v[46:47] offset0:24 offset1:30
	v_lshlrev_b32_e32 v54, 3, v54
	s_waitcnt lgkmcnt(0)
	v_mul_u32_u24_sdwa v32, v61, v55 dst_sel:DWORD dst_unused:UNUSED_PAD src0_sel:WORD_0 src1_sel:DWORD
	s_barrier
	buffer_gl0_inv
	global_load_dwordx4 v[18:21], v54, s[8:9] offset:240
	v_lshlrev_b32_e32 v50, 3, v32
	s_clause 0x1
	global_load_dwordx2 v[40:41], v54, s[8:9] offset:272
	global_load_dwordx4 v[32:35], v50, s[8:9] offset:256
	ds_read_b64 v[42:43], v25
	ds_read_b64 v[44:45], v24
	ds_read2_b64 v[36:39], v14 offset0:24 offset1:240
	ds_read_b64 v[46:47], v31
	ds_read_b64 v[48:49], v22 offset:19008
	s_waitcnt vmcnt(2) lgkmcnt(4)
	v_mul_f32_e32 v51, v19, v43
	v_mul_f32_e32 v19, v19, v42
	s_waitcnt lgkmcnt(3)
	v_mul_f32_e32 v53, v21, v45
	v_mul_f32_e32 v21, v21, v44
	v_fmac_f32_e32 v51, v18, v42
	v_fma_f32 v42, v18, v43, -v19
	v_fmac_f32_e32 v53, v20, v44
	v_fma_f32 v43, v20, v45, -v21
	s_waitcnt vmcnt(1) lgkmcnt(2)
	v_mul_f32_e32 v44, v41, v39
	v_mul_f32_e32 v41, v41, v38
	s_waitcnt vmcnt(0)
	v_mul_f32_e32 v45, v37, v35
	v_mul_f32_e32 v35, v36, v35
	global_load_dwordx4 v[18:21], v50, s[8:9] offset:240
	v_fmac_f32_e32 v44, v40, v38
	v_fma_f32 v38, v40, v39, -v41
	v_fmac_f32_e32 v45, v36, v34
	v_fma_f32 v39, v37, v34, -v35
	ds_read2_b64 v[34:37], v15 offset0:8 offset1:224
	s_waitcnt lgkmcnt(0)
	v_mul_f32_e32 v40, v35, v33
	v_mul_f32_e32 v33, v34, v33
	v_fmac_f32_e32 v40, v34, v32
	v_fma_f32 v41, v35, v32, -v33
	global_load_dwordx4 v[32:35], v54, s[8:9] offset:256
	s_waitcnt vmcnt(0)
	v_mul_f32_e32 v54, v35, v37
	v_mul_f32_e32 v35, v35, v36
	v_fmac_f32_e32 v54, v34, v36
	v_fma_f32 v55, v34, v37, -v35
	ds_read2_b64 v[34:37], v17 offset0:24 offset1:240
	s_waitcnt lgkmcnt(0)
	v_mul_f32_e32 v56, v33, v37
	v_mul_f32_e32 v33, v33, v36
	v_fmac_f32_e32 v56, v32, v36
	v_fma_f32 v32, v32, v37, -v33
	v_mul_f32_e32 v33, v35, v21
	v_mul_f32_e32 v21, v34, v21
	v_mul_u32_u24_e32 v36, 5, v0
	v_mul_u32_u24_e32 v37, 0x6c0, v60
	v_sub_f32_e32 v60, v32, v38
	v_fmac_f32_e32 v33, v34, v20
	v_fma_f32 v34, v35, v20, -v21
	ds_read_b64 v[20:21], v22 offset:5184
	v_mov_b32_e32 v35, 0x6c0
	v_mul_u32_u24_sdwa v35, v52, v35 dst_sel:DWORD dst_unused:UNUSED_PAD src0_sel:WORD_0 src1_sel:DWORD
	v_lshlrev_b32_sdwa v52, v58, v61 dst_sel:DWORD dst_unused:UNUSED_PAD src0_sel:DWORD src1_sel:WORD_0
	v_sub_f32_e32 v61, v33, v45
	v_add3_u32 v52, 0, v37, v52
	v_sub_f32_e32 v37, v43, v55
	s_waitcnt lgkmcnt(0)
	v_mul_f32_e32 v57, v21, v19
	v_mul_f32_e32 v19, v20, v19
	v_fmac_f32_e32 v57, v20, v18
	v_fma_f32 v62, v21, v18, -v19
	global_load_dwordx2 v[18:19], v50, s[8:9] offset:272
	ds_read_b64 v[20:21], v22
	v_lshlrev_b32_sdwa v50, v58, v59 dst_sel:DWORD dst_unused:UNUSED_PAD src0_sel:DWORD src1_sel:BYTE_0
	v_lshlrev_b32_e32 v58, 3, v36
	v_add_f32_e32 v36, v53, v54
	s_waitcnt vmcnt(0) lgkmcnt(0)
	s_barrier
	v_add3_u32 v59, 0, v35, v50
	v_add_f32_e32 v50, v51, v56
	buffer_gl0_inv
	v_mul_f32_e32 v35, v49, v19
	v_mul_f32_e32 v19, v48, v19
	v_fmac_f32_e32 v35, v48, v18
	v_fma_f32 v18, v49, v18, -v19
	v_add_f32_e32 v19, v20, v53
	v_add_f32_e32 v48, v21, v43
	v_sub_f32_e32 v49, v53, v54
	v_add_f32_e32 v53, v56, v44
	v_add_f32_e32 v43, v43, v55
	;; [unrolled: 1-line block ×7, first 2 shown]
	v_fmac_f32_e32 v51, -0.5, v53
	v_add_f32_e32 v53, v47, v34
	v_sub_f32_e32 v56, v56, v44
	v_fmac_f32_e32 v21, -0.5, v43
	v_add_f32_e32 v43, v33, v45
	v_add_f32_e32 v44, v50, v44
	v_sub_f32_e32 v50, v34, v39
	v_add_f32_e32 v34, v34, v39
	v_add_f32_e32 v33, v19, v38
	v_fmac_f32_e32 v42, -0.5, v32
	v_add_f32_e32 v32, v40, v35
	v_add_f32_e32 v38, v55, v45
	v_sub_f32_e32 v45, v41, v18
	v_add_f32_e32 v39, v53, v39
	v_add_f32_e32 v53, v62, v41
	;; [unrolled: 1-line block ×4, first 2 shown]
	v_sub_f32_e32 v40, v40, v35
	v_fmac_f32_e32 v57, -0.5, v32
	v_fma_f32 v20, -0.5, v36, v20
	v_fmac_f32_e32 v62, -0.5, v41
	v_fma_f32 v46, -0.5, v43, v46
	v_add_f32_e32 v43, v53, v18
	v_fmamk_f32 v55, v49, 0x3f5db3d7, v21
	v_fmac_f32_e32 v21, 0xbf5db3d7, v49
	v_fmamk_f32 v49, v56, 0x3f5db3d7, v42
	v_fmac_f32_e32 v42, 0xbf5db3d7, v56
	v_add_f32_e32 v18, v54, v44
	v_sub_f32_e32 v32, v54, v44
	v_fmamk_f32 v44, v45, 0xbf5db3d7, v57
	v_fmac_f32_e32 v57, 0x3f5db3d7, v45
	v_fmamk_f32 v45, v40, 0x3f5db3d7, v62
	v_fmac_f32_e32 v47, -0.5, v34
	v_fmac_f32_e32 v62, 0xbf5db3d7, v40
	v_add_f32_e32 v36, v19, v35
	v_fmamk_f32 v53, v37, 0xbf5db3d7, v20
	v_fmac_f32_e32 v20, 0x3f5db3d7, v37
	v_fmamk_f32 v41, v60, 0xbf5db3d7, v51
	v_add_f32_e32 v35, v39, v43
	v_sub_f32_e32 v37, v39, v43
	v_mul_f32_e32 v43, 0xbf5db3d7, v49
	v_mul_f32_e32 v49, 0.5, v49
	v_fmac_f32_e32 v51, 0x3f5db3d7, v60
	v_add_f32_e32 v19, v48, v33
	v_sub_f32_e32 v33, v48, v33
	v_fmamk_f32 v54, v50, 0xbf5db3d7, v46
	v_fmac_f32_e32 v46, 0x3f5db3d7, v50
	v_mul_f32_e32 v48, 0xbf5db3d7, v42
	v_mul_f32_e32 v50, -0.5, v42
	v_mul_f32_e32 v60, 0xbf5db3d7, v45
	v_mul_f32_e32 v63, 0.5, v45
	v_fmamk_f32 v56, v61, 0x3f5db3d7, v47
	v_fmac_f32_e32 v47, 0xbf5db3d7, v61
	v_mul_f32_e32 v61, 0xbf5db3d7, v62
	v_mul_f32_e32 v62, -0.5, v62
	v_fmac_f32_e32 v43, 0.5, v41
	v_fmac_f32_e32 v49, 0x3f5db3d7, v41
	v_fmac_f32_e32 v48, -0.5, v51
	v_fmac_f32_e32 v50, 0x3f5db3d7, v51
	v_fmac_f32_e32 v60, 0.5, v44
	v_fmac_f32_e32 v63, 0x3f5db3d7, v44
	v_fmac_f32_e32 v61, -0.5, v57
	v_fmac_f32_e32 v62, 0x3f5db3d7, v57
	v_add_f32_e32 v34, v38, v36
	v_sub_f32_e32 v36, v38, v36
	v_add_f32_e32 v38, v53, v43
	v_add_f32_e32 v39, v55, v49
	;; [unrolled: 1-line block ×4, first 2 shown]
	v_sub_f32_e32 v42, v53, v43
	v_sub_f32_e32 v20, v20, v48
	;; [unrolled: 1-line block ×4, first 2 shown]
	v_add_f32_e32 v44, v54, v60
	v_add_f32_e32 v45, v56, v63
	;; [unrolled: 1-line block ×4, first 2 shown]
	v_sub_f32_e32 v50, v54, v60
	v_sub_f32_e32 v46, v46, v61
	;; [unrolled: 1-line block ×4, first 2 shown]
	ds_write2_b64 v59, v[18:19], v[38:39] offset1:36
	ds_write2_b64 v59, v[40:41], v[32:33] offset0:72 offset1:108
	ds_write2_b64 v59, v[42:43], v[20:21] offset0:144 offset1:180
	ds_write2_b64 v52, v[34:35], v[44:45] offset1:36
	ds_write2_b64 v52, v[48:49], v[36:37] offset0:72 offset1:108
	ds_write2_b64 v52, v[50:51], v[46:47] offset0:144 offset1:180
	s_waitcnt lgkmcnt(0)
	s_barrier
	buffer_gl0_inv
	s_clause 0x2
	global_load_dwordx4 v[18:21], v58, s[8:9] offset:1680
	global_load_dwordx4 v[32:35], v58, s[8:9] offset:1696
	global_load_dwordx2 v[48:49], v58, s[8:9] offset:1712
	ds_read_b64 v[50:51], v25
	ds_read_b64 v[52:53], v24
	ds_read_b64 v[54:55], v22 offset:5184
	ds_read2_b64 v[36:39], v17 offset0:24 offset1:240
	ds_read2_b64 v[40:43], v15 offset0:8 offset1:224
	;; [unrolled: 1-line block ×3, first 2 shown]
	ds_read_b64 v[56:57], v31
	ds_read_b64 v[58:59], v22 offset:19008
	s_waitcnt vmcnt(2) lgkmcnt(7)
	v_mul_f32_e32 v17, v19, v51
	v_mul_f32_e32 v14, v19, v50
	s_waitcnt lgkmcnt(6)
	v_mul_f32_e32 v60, v21, v53
	v_mul_f32_e32 v15, v21, v52
	s_waitcnt lgkmcnt(5)
	v_mul_f32_e32 v61, v55, v19
	v_fmac_f32_e32 v17, v18, v50
	v_fma_f32 v62, v18, v51, -v14
	ds_read_b64 v[50:51], v22
	v_mul_f32_e32 v14, v54, v19
	s_waitcnt lgkmcnt(5)
	v_mul_f32_e32 v63, v37, v21
	v_fmac_f32_e32 v60, v20, v52
	v_fma_f32 v19, v20, v53, -v15
	v_mul_f32_e32 v15, v36, v21
	v_fmac_f32_e32 v61, v54, v18
	v_fma_f32 v52, v55, v18, -v14
	s_waitcnt vmcnt(1)
	v_mul_f32_e32 v18, v33, v39
	v_mul_f32_e32 v14, v33, v38
	s_waitcnt lgkmcnt(4)
	v_mul_f32_e32 v54, v41, v33
	v_fmac_f32_e32 v63, v36, v20
	v_fma_f32 v53, v37, v20, -v15
	v_mul_f32_e32 v36, v35, v43
	v_mul_f32_e32 v15, v35, v42
	v_fmac_f32_e32 v18, v32, v38
	v_fma_f32 v37, v32, v39, -v14
	v_mul_f32_e32 v14, v40, v33
	s_waitcnt lgkmcnt(3)
	v_mul_f32_e32 v38, v45, v35
	v_mul_f32_e32 v33, v44, v35
	v_fmac_f32_e32 v54, v40, v32
	s_waitcnt vmcnt(0)
	v_mul_f32_e32 v40, v49, v46
	v_fmac_f32_e32 v36, v34, v42
	v_fma_f32 v35, v34, v43, -v15
	v_fma_f32 v39, v41, v32, -v14
	v_lshlrev_b64 v[20:21], 3, v[0:1]
	v_fmac_f32_e32 v38, v44, v34
	v_fma_f32 v1, v45, v34, -v33
	v_mul_f32_e32 v34, v49, v47
	v_fma_f32 v40, v48, v47, -v40
	s_waitcnt lgkmcnt(0)
	v_add_f32_e32 v41, v50, v60
	v_add_f32_e32 v44, v51, v19
	v_add_f32_e32 v42, v60, v36
	v_fmac_f32_e32 v34, v48, v46
	v_sub_f32_e32 v43, v19, v35
	v_add_f32_e32 v19, v19, v35
	v_sub_f32_e32 v45, v60, v36
	v_add_f32_e32 v41, v41, v36
	v_add_f32_e32 v36, v17, v18
	;; [unrolled: 1-line block ×4, first 2 shown]
	v_fmac_f32_e32 v51, -0.5, v19
	v_add_f32_e32 v19, v18, v34
	v_sub_f32_e32 v18, v18, v34
	v_add_f32_e32 v46, v36, v34
	v_add_f32_e32 v34, v62, v37
	v_fmac_f32_e32 v62, -0.5, v35
	v_sub_f32_e32 v36, v37, v40
	v_fmac_f32_e32 v17, -0.5, v19
	v_lshlrev_b64 v[14:15], 3, v[4:5]
	v_add_co_u32 v5, s0, s8, v20
	v_fmamk_f32 v47, v18, 0x3f5db3d7, v62
	v_fmac_f32_e32 v62, 0xbf5db3d7, v18
	v_fma_f32 v42, -0.5, v42, v50
	v_fmamk_f32 v50, v36, 0xbf5db3d7, v17
	v_fmac_f32_e32 v17, 0x3f5db3d7, v36
	v_add_co_ci_u32_e64 v33, s0, s9, v21, s0
	v_mul_f32_e32 v55, 0xbf5db3d7, v62
	v_mul_f32_e32 v60, -0.5, v62
	v_add_co_u32 v32, s0, 0x2800, v5
	v_mul_f32_e32 v5, v59, v49
	v_mul_f32_e32 v35, v58, v49
	v_add_f32_e32 v40, v34, v40
	v_fmamk_f32 v49, v43, 0xbf5db3d7, v42
	v_fmac_f32_e32 v42, 0x3f5db3d7, v43
	v_fmamk_f32 v43, v45, 0x3f5db3d7, v51
	v_fmac_f32_e32 v51, 0xbf5db3d7, v45
	v_fmac_f32_e32 v55, -0.5, v17
	v_fmac_f32_e32 v60, 0x3f5db3d7, v17
	v_lshlrev_b64 v[18:19], 3, v[6:7]
	v_fma_f32 v7, v59, v48, -v35
	v_sub_f32_e32 v34, v41, v46
	v_sub_f32_e32 v35, v44, v40
	v_add_f32_e32 v36, v42, v55
	v_add_f32_e32 v37, v51, v60
	v_fmac_f32_e32 v5, v58, v48
	s_barrier
	buffer_gl0_inv
	ds_write2_b64 v16, v[36:37], v[34:35] offset0:16 offset1:232
	v_add_f32_e32 v16, v56, v63
	v_add_f32_e32 v35, v53, v1
	;; [unrolled: 1-line block ×4, first 2 shown]
	v_sub_f32_e32 v37, v63, v38
	v_add_f32_e32 v38, v16, v38
	v_add_f32_e32 v16, v54, v5
	v_fmac_f32_e32 v57, -0.5, v35
	v_add_f32_e32 v35, v39, v7
	v_sub_f32_e32 v36, v53, v1
	v_add_f32_e32 v45, v61, v54
	v_add_f32_e32 v1, v17, v1
	v_fmac_f32_e32 v61, -0.5, v16
	v_lshlrev_b64 v[16:17], 3, v[8:9]
	v_sub_f32_e32 v9, v39, v7
	v_add_f32_e32 v48, v52, v39
	v_sub_f32_e32 v53, v54, v5
	v_fmac_f32_e32 v52, -0.5, v35
	v_add_f32_e32 v5, v45, v5
	v_add_f32_e32 v35, v44, v40
	v_fmamk_f32 v44, v9, 0xbf5db3d7, v61
	v_fmac_f32_e32 v61, 0x3f5db3d7, v9
	v_mul_f32_e32 v9, 0xbf5db3d7, v47
	v_mul_f32_e32 v45, 0.5, v47
	v_add_f32_e32 v7, v48, v7
	v_fma_f32 v54, -0.5, v34, v56
	v_add_f32_e32 v34, v41, v46
	v_fmamk_f32 v46, v53, 0x3f5db3d7, v52
	v_fmac_f32_e32 v52, 0xbf5db3d7, v53
	v_add_co_ci_u32_e64 v33, s0, 0, v33, s0
	v_fmac_f32_e32 v9, 0.5, v50
	v_fmac_f32_e32 v45, 0x3f5db3d7, v50
	v_fmamk_f32 v56, v37, 0x3f5db3d7, v57
	v_fmac_f32_e32 v57, 0xbf5db3d7, v37
	v_add_f32_e32 v37, v1, v7
	v_sub_f32_e32 v39, v1, v7
	v_add_co_u32 v1, s0, s8, v14
	v_fmamk_f32 v48, v36, 0xbf5db3d7, v54
	v_fmac_f32_e32 v54, 0x3f5db3d7, v36
	v_add_f32_e32 v36, v38, v5
	v_sub_f32_e32 v38, v38, v5
	v_add_co_ci_u32_e64 v5, s0, s9, v15, s0
	v_mul_f32_e32 v7, 0xbf5db3d7, v46
	v_mul_f32_e32 v47, 0xbf5db3d7, v52
	v_mul_f32_e32 v50, 0.5, v46
	v_mul_f32_e32 v46, -0.5, v52
	v_add_co_u32 v52, s0, s8, v12
	v_add_f32_e32 v40, v49, v9
	v_add_f32_e32 v41, v43, v45
	v_add_co_ci_u32_e64 v53, s0, s9, v13, s0
	v_add_co_u32 v58, s0, s8, v18
	v_add_co_ci_u32_e64 v59, s0, s9, v19, s0
	ds_write2_b64 v22, v[34:35], v[40:41] offset1:216
	v_fmac_f32_e32 v46, 0x3f5db3d7, v61
	v_sub_f32_e32 v34, v49, v9
	v_add_co_u32 v9, s0, s8, v10
	v_fmac_f32_e32 v47, -0.5, v61
	v_fmac_f32_e32 v50, 0x3f5db3d7, v44
	v_add_co_ci_u32_e64 v61, s0, s9, v11, s0
	v_fmac_f32_e32 v7, 0.5, v44
	v_sub_f32_e32 v40, v42, v55
	v_add_co_u32 v55, s0, s8, v16
	v_sub_f32_e32 v35, v43, v45
	v_add_f32_e32 v43, v57, v46
	v_sub_f32_e32 v45, v57, v46
	v_add_co_ci_u32_e64 v57, s0, s9, v17, s0
	v_add_f32_e32 v42, v54, v47
	v_sub_f32_e32 v44, v54, v47
	v_add_f32_e32 v47, v56, v50
	v_sub_f32_e32 v49, v56, v50
	v_add_co_u32 v50, s0, 0x2800, v1
	v_sub_f32_e32 v41, v51, v60
	v_add_f32_e32 v46, v48, v7
	v_add_co_ci_u32_e64 v51, s0, 0, v5, s0
	v_sub_f32_e32 v48, v48, v7
	ds_write2_b64 v30, v[34:35], v[40:41] offset0:32 offset1:248
	ds_write2_b64 v29, v[36:37], v[46:47] offset0:16 offset1:232
	ds_write2_b64 v27, v[42:43], v[38:39] offset1:216
	ds_write2_b64 v28, v[48:49], v[44:45] offset0:16 offset1:232
	s_waitcnt lgkmcnt(0)
	s_barrier
	buffer_gl0_inv
	s_clause 0x1
	global_load_dwordx2 v[40:41], v[32:33], off offset:80
	global_load_dwordx2 v[42:43], v[50:51], off offset:80
	v_add_co_u32 v32, s0, 0x2800, v52
	v_add_co_ci_u32_e64 v33, s0, 0, v53, s0
	v_add_co_u32 v34, s0, 0x2800, v58
	v_add_co_ci_u32_e64 v35, s0, 0, v59, s0
	global_load_dwordx2 v[44:45], v[32:33], off offset:80
	v_lshl_add_u32 v1, v8, 3, 0
	global_load_dwordx2 v[46:47], v[34:35], off offset:80
	v_add_co_u32 v32, s0, 0x2800, v9
	v_add_co_ci_u32_e64 v33, s0, 0, v61, s0
	v_add_co_u32 v34, s0, 0x2800, v55
	v_add_co_ci_u32_e64 v35, s0, 0, v57, s0
	s_clause 0x1
	global_load_dwordx2 v[48:49], v[32:33], off offset:80
	global_load_dwordx2 v[50:51], v[34:35], off offset:80
	ds_read2_b64 v[32:35], v29 offset0:16 offset1:232
	ds_read2_b64 v[36:39], v27 offset1:216
	v_lshl_add_u32 v9, v6, 3, 0
	ds_read_b64 v[29:30], v22
	ds_read_b64 v[52:53], v25
	ds_read2_b64 v[5:8], v28 offset0:16 offset1:232
	ds_read_b64 v[27:28], v9
	ds_read_b64 v[54:55], v24
	s_waitcnt vmcnt(5) lgkmcnt(6)
	v_mul_f32_e32 v56, v41, v33
	v_mul_f32_e32 v41, v41, v32
	s_waitcnt vmcnt(4)
	v_mul_f32_e32 v57, v43, v35
	v_mul_f32_e32 v43, v43, v34
	v_fmac_f32_e32 v56, v40, v32
	v_fma_f32 v40, v40, v33, -v41
	v_fmac_f32_e32 v57, v42, v34
	v_fma_f32 v41, v42, v35, -v43
	ds_read_b64 v[32:33], v31
	ds_read_b64 v[34:35], v1
	s_waitcnt vmcnt(3) lgkmcnt(7)
	v_mul_f32_e32 v42, v45, v37
	v_mul_f32_e32 v43, v45, v36
	s_waitcnt vmcnt(0) lgkmcnt(0)
	v_mul_f32_e32 v45, v47, v39
	v_mul_f32_e32 v47, v47, v38
	v_fmac_f32_e32 v42, v44, v36
	v_fma_f32 v37, v44, v37, -v43
	s_barrier
	v_fmac_f32_e32 v45, v46, v38
	v_fma_f32 v39, v46, v39, -v47
	buffer_gl0_inv
	v_sub_f32_e32 v37, v53, v37
	v_mul_f32_e32 v43, v49, v6
	v_mul_f32_e32 v36, v49, v5
	v_mul_f32_e32 v44, v8, v51
	v_mul_f32_e32 v38, v7, v51
	v_sub_f32_e32 v39, v28, v39
	v_fmac_f32_e32 v43, v48, v5
	v_fma_f32 v46, v48, v6, -v36
	v_fmac_f32_e32 v44, v7, v50
	v_fma_f32 v47, v8, v50, -v38
	v_sub_f32_e32 v5, v29, v56
	v_sub_f32_e32 v6, v30, v40
	;; [unrolled: 1-line block ×10, first 2 shown]
	v_fma_f32 v29, v29, 2.0, -v5
	v_fma_f32 v30, v30, 2.0, -v6
	;; [unrolled: 1-line block ×12, first 2 shown]
	ds_write_b64 v22, v[5:6] offset:10368
	ds_write_b64 v22, v[29:30]
	ds_write_b64 v31, v[32:33]
	ds_write_b64 v31, v[7:8] offset:10368
	ds_write_b64 v25, v[44:45]
	ds_write_b64 v25, v[36:37] offset:10368
	ds_write_b64 v9, v[27:28]
	ds_write_b64 v9, v[38:39] offset:10368
	ds_write_b64 v24, v[46:47]
	ds_write_b64 v24, v[40:41] offset:10368
	ds_write_b64 v1, v[34:35]
	ds_write_b64 v1, v[42:43] offset:10368
	s_waitcnt lgkmcnt(0)
	s_barrier
	buffer_gl0_inv
	ds_read_b64 v[7:8], v22
                                        ; implicit-def: $vgpr5
                                        ; implicit-def: $vgpr27
                                        ; implicit-def: $vgpr28
	v_cmpx_ne_u32_e32 0, v0
	s_xor_b32 s5, exec_lo, s5
	s_cbranch_execz .LBB0_15
; %bb.14:
	v_add_co_u32 v5, s0, s1, v20
	v_add_co_ci_u32_e64 v6, s0, s4, v21, s0
	global_load_dwordx2 v[20:21], v[5:6], off
	ds_read_b64 v[5:6], v23 offset:20736
	s_waitcnt lgkmcnt(0)
	v_sub_f32_e32 v27, v7, v5
	v_add_f32_e32 v28, v6, v8
	v_sub_f32_e32 v6, v8, v6
	v_add_f32_e32 v5, v5, v7
	v_mul_f32_e32 v8, 0.5, v27
	v_mul_f32_e32 v7, 0.5, v28
	;; [unrolled: 1-line block ×3, first 2 shown]
	s_waitcnt vmcnt(0)
	v_mul_f32_e32 v28, v21, v8
	v_fma_f32 v29, v7, v21, v6
	v_fma_f32 v6, v7, v21, -v6
	v_fma_f32 v27, 0.5, v5, v28
	v_fma_f32 v5, v5, 0.5, -v28
	v_fma_f32 v28, -v20, v8, v29
	v_fma_f32 v6, -v20, v8, v6
	v_fmac_f32_e32 v27, v20, v7
	v_fma_f32 v5, -v20, v7, v5
                                        ; implicit-def: $vgpr7_vgpr8
.LBB0_15:
	s_or_saveexec_b32 s0, s5
	v_mul_i32_i24_e32 v4, 0xffffffd8, v4
	s_xor_b32 exec_lo, exec_lo, s0
	s_cbranch_execz .LBB0_17
; %bb.16:
	v_mov_b32_e32 v28, 0
	s_waitcnt lgkmcnt(0)
	v_add_f32_e32 v27, v7, v8
	v_sub_f32_e32 v5, v7, v8
	ds_read_b32 v6, v28 offset:10372
	s_waitcnt lgkmcnt(0)
	v_xor_b32_e32 v7, 0x80000000, v6
	v_mov_b32_e32 v6, 0
	ds_write_b32 v28, v7 offset:10372
.LBB0_17:
	s_or_b32 exec_lo, exec_lo, s0
	s_waitcnt lgkmcnt(0)
	v_add_co_u32 v7, s0, s1, v14
	v_add_co_ci_u32_e64 v8, s0, s4, v15, s0
	v_add_co_u32 v12, s0, s1, v12
	v_add_co_ci_u32_e64 v13, s0, s4, v13, s0
	global_load_dwordx2 v[7:8], v[7:8], off
	v_add_co_u32 v14, s0, s1, v18
	global_load_dwordx2 v[12:13], v[12:13], off
	v_add_co_ci_u32_e64 v15, s0, s4, v19, s0
	v_add_co_u32 v10, s0, s1, v10
	v_add_co_ci_u32_e64 v11, s0, s4, v11, s0
	global_load_dwordx2 v[14:15], v[14:15], off
	v_add_co_u32 v16, s0, s1, v16
	global_load_dwordx2 v[10:11], v[10:11], off
	v_add_co_ci_u32_e64 v17, s0, s4, v17, s0
	v_add_nc_u32_e32 v20, v26, v4
	global_load_dwordx2 v[16:17], v[16:17], off
	ds_write2_b32 v22, v27, v28 offset1:1
	ds_write_b64 v23, v[5:6] offset:20736
	ds_read_b64 v[4:5], v20
	ds_read_b64 v[18:19], v23 offset:19008
	s_waitcnt lgkmcnt(0)
	v_sub_f32_e32 v6, v4, v18
	v_add_f32_e32 v21, v5, v19
	v_sub_f32_e32 v5, v5, v19
	v_add_f32_e32 v4, v4, v18
	v_mul_f32_e32 v6, 0.5, v6
	v_mul_f32_e32 v19, 0.5, v21
	;; [unrolled: 1-line block ×3, first 2 shown]
	s_waitcnt vmcnt(4)
	v_mul_f32_e32 v18, v8, v6
	v_fma_f32 v21, v19, v8, v5
	v_fma_f32 v5, v19, v8, -v5
	v_fma_f32 v8, 0.5, v4, v18
	v_fma_f32 v4, v4, 0.5, -v18
	v_fma_f32 v18, -v7, v6, v21
	v_fma_f32 v5, -v7, v6, v5
	v_fmac_f32_e32 v8, v7, v19
	v_fma_f32 v4, -v7, v19, v4
	ds_write_b32 v20, v18 offset:4
	ds_write_b32 v23, v5 offset:19012
	ds_write_b32 v20, v8
	ds_write_b32 v23, v4 offset:19008
	ds_read_b64 v[4:5], v25
	ds_read_b64 v[6:7], v23 offset:17280
	s_waitcnt lgkmcnt(0)
	v_sub_f32_e32 v8, v4, v6
	v_add_f32_e32 v18, v5, v7
	v_sub_f32_e32 v5, v5, v7
	v_add_f32_e32 v4, v4, v6
	v_mul_f32_e32 v7, 0.5, v8
	v_mul_f32_e32 v8, 0.5, v18
	v_mul_f32_e32 v5, 0.5, v5
	s_waitcnt vmcnt(3)
	v_mul_f32_e32 v6, v13, v7
	v_fma_f32 v18, v8, v13, v5
	v_fma_f32 v5, v8, v13, -v5
	v_fma_f32 v13, 0.5, v4, v6
	v_fma_f32 v4, v4, 0.5, -v6
	v_fma_f32 v6, -v12, v7, v18
	v_fma_f32 v5, -v12, v7, v5
	v_fmac_f32_e32 v13, v12, v8
	v_fma_f32 v4, -v12, v8, v4
	ds_write2_b32 v25, v13, v6 offset1:1
	ds_write_b64 v23, v[4:5] offset:17280
	ds_read_b64 v[4:5], v9
	ds_read_b64 v[6:7], v23 offset:15552
	s_waitcnt lgkmcnt(0)
	v_sub_f32_e32 v8, v4, v6
	v_add_f32_e32 v12, v5, v7
	v_sub_f32_e32 v5, v5, v7
	v_add_f32_e32 v4, v4, v6
	v_mul_f32_e32 v7, 0.5, v8
	v_mul_f32_e32 v8, 0.5, v12
	v_mul_f32_e32 v5, 0.5, v5
	s_waitcnt vmcnt(2)
	v_mul_f32_e32 v6, v15, v7
	v_fma_f32 v12, v8, v15, v5
	v_fma_f32 v5, v8, v15, -v5
	v_fma_f32 v13, 0.5, v4, v6
	v_fma_f32 v4, v4, 0.5, -v6
	v_fma_f32 v6, -v14, v7, v12
	v_fma_f32 v5, -v14, v7, v5
	v_fmac_f32_e32 v13, v14, v8
	v_fma_f32 v4, -v14, v8, v4
	ds_write2_b32 v9, v13, v6 offset1:1
	ds_write_b64 v23, v[4:5] offset:15552
	;; [unrolled: 22-line block ×4, first 2 shown]
	s_waitcnt lgkmcnt(0)
	s_barrier
	buffer_gl0_inv
	s_and_saveexec_b32 s0, vcc_lo
	s_cbranch_execz .LBB0_20
; %bb.18:
	v_mov_b32_e32 v1, 0
	v_add_nc_u32_e32 v8, 0xd00, v22
	ds_read2_b64 v[4:7], v22 offset1:216
	v_add_co_u32 v2, vcc_lo, s2, v2
	v_lshlrev_b64 v[12:13], 3, v[0:1]
	ds_read2_b64 v[8:11], v8 offset0:16 offset1:232
	v_add_co_ci_u32_e32 v3, vcc_lo, s3, v3, vcc_lo
	v_add_nc_u32_e32 v16, 0x2800, v22
	v_add_co_u32 v20, vcc_lo, v2, v12
	v_add_nc_u32_e32 v12, 0x1a00, v22
	v_add_co_ci_u32_e32 v21, vcc_lo, v3, v13, vcc_lo
	ds_read2_b64 v[16:19], v16 offset0:16 offset1:232
	v_add_co_u32 v23, vcc_lo, 0x800, v20
	ds_read2_b64 v[12:15], v12 offset0:32 offset1:248
	v_add_co_ci_u32_e32 v24, vcc_lo, 0, v21, vcc_lo
	v_add_co_u32 v25, vcc_lo, 0x1000, v20
	v_add_co_ci_u32_e32 v26, vcc_lo, 0, v21, vcc_lo
	s_waitcnt lgkmcnt(3)
	global_store_dwordx2 v[20:21], v[4:5], off
	v_add_co_u32 v4, vcc_lo, 0x1800, v20
	v_add_co_ci_u32_e32 v5, vcc_lo, 0, v21, vcc_lo
	global_store_dwordx2 v[20:21], v[6:7], off offset:1728
	s_waitcnt lgkmcnt(2)
	global_store_dwordx2 v[23:24], v[8:9], off offset:1408
	global_store_dwordx2 v[25:26], v[10:11], off offset:1088
	v_add_co_u32 v6, vcc_lo, 0x2000, v20
	v_add_co_ci_u32_e32 v7, vcc_lo, 0, v21, vcc_lo
	v_add_co_u32 v8, vcc_lo, 0x2800, v20
	v_add_co_ci_u32_e32 v9, vcc_lo, 0, v21, vcc_lo
	v_add_nc_u32_e32 v10, 0x3600, v22
	v_add_nc_u32_e32 v11, 0x4300, v22
	s_waitcnt lgkmcnt(0)
	global_store_dwordx2 v[4:5], v[12:13], off offset:768
	global_store_dwordx2 v[6:7], v[14:15], off offset:448
	;; [unrolled: 1-line block ×4, first 2 shown]
	ds_read2_b64 v[4:7], v10 offset1:216
	ds_read2_b64 v[8:11], v11 offset0:16 offset1:232
	v_add_co_u32 v12, vcc_lo, 0x3000, v20
	v_add_co_ci_u32_e32 v13, vcc_lo, 0, v21, vcc_lo
	v_add_co_u32 v14, vcc_lo, 0x3800, v20
	v_add_co_ci_u32_e32 v15, vcc_lo, 0, v21, vcc_lo
	;; [unrolled: 2-line block ×4, first 2 shown]
	v_cmp_eq_u32_e32 vcc_lo, 0xd7, v0
	s_waitcnt lgkmcnt(1)
	global_store_dwordx2 v[12:13], v[4:5], off offset:1536
	global_store_dwordx2 v[14:15], v[6:7], off offset:1216
	s_waitcnt lgkmcnt(0)
	global_store_dwordx2 v[16:17], v[8:9], off offset:896
	global_store_dwordx2 v[18:19], v[10:11], off offset:576
	s_and_b32 exec_lo, exec_lo, vcc_lo
	s_cbranch_execz .LBB0_20
; %bb.19:
	ds_read_b64 v[0:1], v1 offset:20736
	v_add_co_u32 v2, vcc_lo, 0x5000, v2
	v_add_co_ci_u32_e32 v3, vcc_lo, 0, v3, vcc_lo
	s_waitcnt lgkmcnt(0)
	global_store_dwordx2 v[2:3], v[0:1], off offset:256
.LBB0_20:
	s_endpgm
	.section	.rodata,"a",@progbits
	.p2align	6, 0x0
	.amdhsa_kernel fft_rtc_back_len2592_factors_6_6_6_6_2_wgs_216_tpt_216_halfLds_sp_ip_CI_unitstride_sbrr_R2C_dirReg
		.amdhsa_group_segment_fixed_size 0
		.amdhsa_private_segment_fixed_size 0
		.amdhsa_kernarg_size 88
		.amdhsa_user_sgpr_count 6
		.amdhsa_user_sgpr_private_segment_buffer 1
		.amdhsa_user_sgpr_dispatch_ptr 0
		.amdhsa_user_sgpr_queue_ptr 0
		.amdhsa_user_sgpr_kernarg_segment_ptr 1
		.amdhsa_user_sgpr_dispatch_id 0
		.amdhsa_user_sgpr_flat_scratch_init 0
		.amdhsa_user_sgpr_private_segment_size 0
		.amdhsa_wavefront_size32 1
		.amdhsa_uses_dynamic_stack 0
		.amdhsa_system_sgpr_private_segment_wavefront_offset 0
		.amdhsa_system_sgpr_workgroup_id_x 1
		.amdhsa_system_sgpr_workgroup_id_y 0
		.amdhsa_system_sgpr_workgroup_id_z 0
		.amdhsa_system_sgpr_workgroup_info 0
		.amdhsa_system_vgpr_workitem_id 0
		.amdhsa_next_free_vgpr 65
		.amdhsa_next_free_sgpr 21
		.amdhsa_reserve_vcc 1
		.amdhsa_reserve_flat_scratch 0
		.amdhsa_float_round_mode_32 0
		.amdhsa_float_round_mode_16_64 0
		.amdhsa_float_denorm_mode_32 3
		.amdhsa_float_denorm_mode_16_64 3
		.amdhsa_dx10_clamp 1
		.amdhsa_ieee_mode 1
		.amdhsa_fp16_overflow 0
		.amdhsa_workgroup_processor_mode 1
		.amdhsa_memory_ordered 1
		.amdhsa_forward_progress 0
		.amdhsa_shared_vgpr_count 0
		.amdhsa_exception_fp_ieee_invalid_op 0
		.amdhsa_exception_fp_denorm_src 0
		.amdhsa_exception_fp_ieee_div_zero 0
		.amdhsa_exception_fp_ieee_overflow 0
		.amdhsa_exception_fp_ieee_underflow 0
		.amdhsa_exception_fp_ieee_inexact 0
		.amdhsa_exception_int_div_zero 0
	.end_amdhsa_kernel
	.text
.Lfunc_end0:
	.size	fft_rtc_back_len2592_factors_6_6_6_6_2_wgs_216_tpt_216_halfLds_sp_ip_CI_unitstride_sbrr_R2C_dirReg, .Lfunc_end0-fft_rtc_back_len2592_factors_6_6_6_6_2_wgs_216_tpt_216_halfLds_sp_ip_CI_unitstride_sbrr_R2C_dirReg
                                        ; -- End function
	.section	.AMDGPU.csdata,"",@progbits
; Kernel info:
; codeLenInByte = 7924
; NumSgprs: 23
; NumVgprs: 65
; ScratchSize: 0
; MemoryBound: 0
; FloatMode: 240
; IeeeMode: 1
; LDSByteSize: 0 bytes/workgroup (compile time only)
; SGPRBlocks: 2
; VGPRBlocks: 8
; NumSGPRsForWavesPerEU: 23
; NumVGPRsForWavesPerEU: 65
; Occupancy: 12
; WaveLimiterHint : 1
; COMPUTE_PGM_RSRC2:SCRATCH_EN: 0
; COMPUTE_PGM_RSRC2:USER_SGPR: 6
; COMPUTE_PGM_RSRC2:TRAP_HANDLER: 0
; COMPUTE_PGM_RSRC2:TGID_X_EN: 1
; COMPUTE_PGM_RSRC2:TGID_Y_EN: 0
; COMPUTE_PGM_RSRC2:TGID_Z_EN: 0
; COMPUTE_PGM_RSRC2:TIDIG_COMP_CNT: 0
	.text
	.p2alignl 6, 3214868480
	.fill 48, 4, 3214868480
	.type	__hip_cuid_7d4e5d215ef23647,@object ; @__hip_cuid_7d4e5d215ef23647
	.section	.bss,"aw",@nobits
	.globl	__hip_cuid_7d4e5d215ef23647
__hip_cuid_7d4e5d215ef23647:
	.byte	0                               ; 0x0
	.size	__hip_cuid_7d4e5d215ef23647, 1

	.ident	"AMD clang version 19.0.0git (https://github.com/RadeonOpenCompute/llvm-project roc-6.4.0 25133 c7fe45cf4b819c5991fe208aaa96edf142730f1d)"
	.section	".note.GNU-stack","",@progbits
	.addrsig
	.addrsig_sym __hip_cuid_7d4e5d215ef23647
	.amdgpu_metadata
---
amdhsa.kernels:
  - .args:
      - .actual_access:  read_only
        .address_space:  global
        .offset:         0
        .size:           8
        .value_kind:     global_buffer
      - .offset:         8
        .size:           8
        .value_kind:     by_value
      - .actual_access:  read_only
        .address_space:  global
        .offset:         16
        .size:           8
        .value_kind:     global_buffer
      - .actual_access:  read_only
        .address_space:  global
        .offset:         24
        .size:           8
        .value_kind:     global_buffer
      - .offset:         32
        .size:           8
        .value_kind:     by_value
      - .actual_access:  read_only
        .address_space:  global
        .offset:         40
        .size:           8
        .value_kind:     global_buffer
      - .actual_access:  read_only
        .address_space:  global
        .offset:         48
        .size:           8
        .value_kind:     global_buffer
      - .offset:         56
        .size:           4
        .value_kind:     by_value
      - .actual_access:  read_only
        .address_space:  global
        .offset:         64
        .size:           8
        .value_kind:     global_buffer
      - .actual_access:  read_only
        .address_space:  global
        .offset:         72
        .size:           8
        .value_kind:     global_buffer
      - .address_space:  global
        .offset:         80
        .size:           8
        .value_kind:     global_buffer
    .group_segment_fixed_size: 0
    .kernarg_segment_align: 8
    .kernarg_segment_size: 88
    .language:       OpenCL C
    .language_version:
      - 2
      - 0
    .max_flat_workgroup_size: 216
    .name:           fft_rtc_back_len2592_factors_6_6_6_6_2_wgs_216_tpt_216_halfLds_sp_ip_CI_unitstride_sbrr_R2C_dirReg
    .private_segment_fixed_size: 0
    .sgpr_count:     23
    .sgpr_spill_count: 0
    .symbol:         fft_rtc_back_len2592_factors_6_6_6_6_2_wgs_216_tpt_216_halfLds_sp_ip_CI_unitstride_sbrr_R2C_dirReg.kd
    .uniform_work_group_size: 1
    .uses_dynamic_stack: false
    .vgpr_count:     65
    .vgpr_spill_count: 0
    .wavefront_size: 32
    .workgroup_processor_mode: 1
amdhsa.target:   amdgcn-amd-amdhsa--gfx1030
amdhsa.version:
  - 1
  - 2
...

	.end_amdgpu_metadata
